;; amdgpu-corpus repo=ROCm/rocFFT kind=compiled arch=gfx906 opt=O3
	.text
	.amdgcn_target "amdgcn-amd-amdhsa--gfx906"
	.amdhsa_code_object_version 6
	.protected	fft_rtc_fwd_len525_factors_7_3_5_5_wgs_105_tpt_105_half_op_CI_CI_sbrr_dirReg ; -- Begin function fft_rtc_fwd_len525_factors_7_3_5_5_wgs_105_tpt_105_half_op_CI_CI_sbrr_dirReg
	.globl	fft_rtc_fwd_len525_factors_7_3_5_5_wgs_105_tpt_105_half_op_CI_CI_sbrr_dirReg
	.p2align	8
	.type	fft_rtc_fwd_len525_factors_7_3_5_5_wgs_105_tpt_105_half_op_CI_CI_sbrr_dirReg,@function
fft_rtc_fwd_len525_factors_7_3_5_5_wgs_105_tpt_105_half_op_CI_CI_sbrr_dirReg: ; @fft_rtc_fwd_len525_factors_7_3_5_5_wgs_105_tpt_105_half_op_CI_CI_sbrr_dirReg
; %bb.0:
	s_load_dwordx4 s[16:19], s[4:5], 0x18
	s_load_dwordx4 s[12:15], s[4:5], 0x0
	;; [unrolled: 1-line block ×3, first 2 shown]
	v_mul_u32_u24_e32 v1, 0x271, v0
	v_mov_b32_e32 v7, 0
	s_waitcnt lgkmcnt(0)
	s_load_dwordx2 s[20:21], s[16:17], 0x0
	s_load_dwordx2 s[2:3], s[18:19], 0x0
	v_cmp_lt_u64_e64 s[0:1], s[14:15], 2
	v_mov_b32_e32 v5, 0
	v_add_u32_sdwa v9, s6, v1 dst_sel:DWORD dst_unused:UNUSED_PAD src0_sel:DWORD src1_sel:WORD_1
	v_mov_b32_e32 v10, v7
	s_and_b64 vcc, exec, s[0:1]
	v_mov_b32_e32 v6, 0
	s_cbranch_vccnz .LBB0_8
; %bb.1:
	s_load_dwordx2 s[0:1], s[4:5], 0x10
	s_add_u32 s6, s18, 8
	s_addc_u32 s7, s19, 0
	s_add_u32 s22, s16, 8
	s_addc_u32 s23, s17, 0
	v_mov_b32_e32 v5, 0
	s_waitcnt lgkmcnt(0)
	s_add_u32 s24, s0, 8
	v_mov_b32_e32 v6, 0
	v_mov_b32_e32 v1, v5
	s_addc_u32 s25, s1, 0
	s_mov_b64 s[26:27], 1
	v_mov_b32_e32 v2, v6
.LBB0_2:                                ; =>This Inner Loop Header: Depth=1
	s_load_dwordx2 s[28:29], s[24:25], 0x0
                                        ; implicit-def: $vgpr3_vgpr4
	s_waitcnt lgkmcnt(0)
	v_or_b32_e32 v8, s29, v10
	v_cmp_ne_u64_e32 vcc, 0, v[7:8]
	s_and_saveexec_b64 s[0:1], vcc
	s_xor_b64 s[30:31], exec, s[0:1]
	s_cbranch_execz .LBB0_4
; %bb.3:                                ;   in Loop: Header=BB0_2 Depth=1
	v_cvt_f32_u32_e32 v3, s28
	v_cvt_f32_u32_e32 v4, s29
	s_sub_u32 s0, 0, s28
	s_subb_u32 s1, 0, s29
	v_mac_f32_e32 v3, 0x4f800000, v4
	v_rcp_f32_e32 v3, v3
	v_mul_f32_e32 v3, 0x5f7ffffc, v3
	v_mul_f32_e32 v4, 0x2f800000, v3
	v_trunc_f32_e32 v4, v4
	v_mac_f32_e32 v3, 0xcf800000, v4
	v_cvt_u32_f32_e32 v4, v4
	v_cvt_u32_f32_e32 v3, v3
	v_mul_lo_u32 v8, s0, v4
	v_mul_hi_u32 v11, s0, v3
	v_mul_lo_u32 v13, s1, v3
	v_mul_lo_u32 v12, s0, v3
	v_add_u32_e32 v8, v11, v8
	v_add_u32_e32 v8, v8, v13
	v_mul_hi_u32 v11, v3, v12
	v_mul_lo_u32 v13, v3, v8
	v_mul_hi_u32 v15, v3, v8
	v_mul_hi_u32 v14, v4, v12
	v_mul_lo_u32 v12, v4, v12
	v_mul_hi_u32 v16, v4, v8
	v_add_co_u32_e32 v11, vcc, v11, v13
	v_addc_co_u32_e32 v13, vcc, 0, v15, vcc
	v_mul_lo_u32 v8, v4, v8
	v_add_co_u32_e32 v11, vcc, v11, v12
	v_addc_co_u32_e32 v11, vcc, v13, v14, vcc
	v_addc_co_u32_e32 v12, vcc, 0, v16, vcc
	v_add_co_u32_e32 v8, vcc, v11, v8
	v_addc_co_u32_e32 v11, vcc, 0, v12, vcc
	v_add_co_u32_e32 v3, vcc, v3, v8
	v_addc_co_u32_e32 v4, vcc, v4, v11, vcc
	v_mul_lo_u32 v8, s0, v4
	v_mul_hi_u32 v11, s0, v3
	v_mul_lo_u32 v12, s1, v3
	v_mul_lo_u32 v13, s0, v3
	v_add_u32_e32 v8, v11, v8
	v_add_u32_e32 v8, v8, v12
	v_mul_lo_u32 v14, v3, v8
	v_mul_hi_u32 v15, v3, v13
	v_mul_hi_u32 v16, v3, v8
	;; [unrolled: 1-line block ×3, first 2 shown]
	v_mul_lo_u32 v13, v4, v13
	v_mul_hi_u32 v11, v4, v8
	v_add_co_u32_e32 v14, vcc, v15, v14
	v_addc_co_u32_e32 v15, vcc, 0, v16, vcc
	v_mul_lo_u32 v8, v4, v8
	v_add_co_u32_e32 v13, vcc, v14, v13
	v_addc_co_u32_e32 v12, vcc, v15, v12, vcc
	v_addc_co_u32_e32 v11, vcc, 0, v11, vcc
	v_add_co_u32_e32 v8, vcc, v12, v8
	v_addc_co_u32_e32 v11, vcc, 0, v11, vcc
	v_add_co_u32_e32 v8, vcc, v3, v8
	v_addc_co_u32_e32 v11, vcc, v4, v11, vcc
	v_mad_u64_u32 v[3:4], s[0:1], v9, v11, 0
	v_mul_hi_u32 v12, v9, v8
	v_add_co_u32_e32 v13, vcc, v12, v3
	v_addc_co_u32_e32 v14, vcc, 0, v4, vcc
	v_mad_u64_u32 v[3:4], s[0:1], v10, v8, 0
	v_mad_u64_u32 v[11:12], s[0:1], v10, v11, 0
	v_add_co_u32_e32 v3, vcc, v13, v3
	v_addc_co_u32_e32 v3, vcc, v14, v4, vcc
	v_addc_co_u32_e32 v4, vcc, 0, v12, vcc
	v_add_co_u32_e32 v8, vcc, v3, v11
	v_addc_co_u32_e32 v11, vcc, 0, v4, vcc
	v_mul_lo_u32 v12, s29, v8
	v_mul_lo_u32 v13, s28, v11
	v_mad_u64_u32 v[3:4], s[0:1], s28, v8, 0
	v_add3_u32 v4, v4, v13, v12
	v_sub_u32_e32 v12, v10, v4
	v_mov_b32_e32 v13, s29
	v_sub_co_u32_e32 v3, vcc, v9, v3
	v_subb_co_u32_e64 v12, s[0:1], v12, v13, vcc
	v_subrev_co_u32_e64 v13, s[0:1], s28, v3
	v_subbrev_co_u32_e64 v12, s[0:1], 0, v12, s[0:1]
	v_cmp_le_u32_e64 s[0:1], s29, v12
	v_cndmask_b32_e64 v14, 0, -1, s[0:1]
	v_cmp_le_u32_e64 s[0:1], s28, v13
	v_cndmask_b32_e64 v13, 0, -1, s[0:1]
	v_cmp_eq_u32_e64 s[0:1], s29, v12
	v_cndmask_b32_e64 v12, v14, v13, s[0:1]
	v_add_co_u32_e64 v13, s[0:1], 2, v8
	v_addc_co_u32_e64 v14, s[0:1], 0, v11, s[0:1]
	v_add_co_u32_e64 v15, s[0:1], 1, v8
	v_addc_co_u32_e64 v16, s[0:1], 0, v11, s[0:1]
	v_subb_co_u32_e32 v4, vcc, v10, v4, vcc
	v_cmp_ne_u32_e64 s[0:1], 0, v12
	v_cmp_le_u32_e32 vcc, s29, v4
	v_cndmask_b32_e64 v12, v16, v14, s[0:1]
	v_cndmask_b32_e64 v14, 0, -1, vcc
	v_cmp_le_u32_e32 vcc, s28, v3
	v_cndmask_b32_e64 v3, 0, -1, vcc
	v_cmp_eq_u32_e32 vcc, s29, v4
	v_cndmask_b32_e32 v3, v14, v3, vcc
	v_cmp_ne_u32_e32 vcc, 0, v3
	v_cndmask_b32_e64 v3, v15, v13, s[0:1]
	v_cndmask_b32_e32 v4, v11, v12, vcc
	v_cndmask_b32_e32 v3, v8, v3, vcc
.LBB0_4:                                ;   in Loop: Header=BB0_2 Depth=1
	s_andn2_saveexec_b64 s[0:1], s[30:31]
	s_cbranch_execz .LBB0_6
; %bb.5:                                ;   in Loop: Header=BB0_2 Depth=1
	v_cvt_f32_u32_e32 v3, s28
	s_sub_i32 s30, 0, s28
	v_rcp_iflag_f32_e32 v3, v3
	v_mul_f32_e32 v3, 0x4f7ffffe, v3
	v_cvt_u32_f32_e32 v3, v3
	v_mul_lo_u32 v4, s30, v3
	v_mul_hi_u32 v4, v3, v4
	v_add_u32_e32 v3, v3, v4
	v_mul_hi_u32 v3, v9, v3
	v_mul_lo_u32 v4, v3, s28
	v_add_u32_e32 v8, 1, v3
	v_sub_u32_e32 v4, v9, v4
	v_subrev_u32_e32 v11, s28, v4
	v_cmp_le_u32_e32 vcc, s28, v4
	v_cndmask_b32_e32 v4, v4, v11, vcc
	v_cndmask_b32_e32 v3, v3, v8, vcc
	v_add_u32_e32 v8, 1, v3
	v_cmp_le_u32_e32 vcc, s28, v4
	v_cndmask_b32_e32 v3, v3, v8, vcc
	v_mov_b32_e32 v4, v7
.LBB0_6:                                ;   in Loop: Header=BB0_2 Depth=1
	s_or_b64 exec, exec, s[0:1]
	v_mul_lo_u32 v8, v4, s28
	v_mul_lo_u32 v13, v3, s29
	v_mad_u64_u32 v[11:12], s[0:1], v3, s28, 0
	s_load_dwordx2 s[0:1], s[22:23], 0x0
	s_load_dwordx2 s[28:29], s[6:7], 0x0
	v_add3_u32 v8, v12, v13, v8
	v_sub_co_u32_e32 v9, vcc, v9, v11
	v_subb_co_u32_e32 v8, vcc, v10, v8, vcc
	s_waitcnt lgkmcnt(0)
	v_mul_lo_u32 v10, s0, v8
	v_mul_lo_u32 v11, s1, v9
	v_mad_u64_u32 v[5:6], s[0:1], s0, v9, v[5:6]
	v_mul_lo_u32 v8, s28, v8
	v_mul_lo_u32 v12, s29, v9
	v_mad_u64_u32 v[1:2], s[0:1], s28, v9, v[1:2]
	s_add_u32 s26, s26, 1
	s_addc_u32 s27, s27, 0
	s_add_u32 s6, s6, 8
	v_add3_u32 v2, v12, v2, v8
	s_addc_u32 s7, s7, 0
	v_mov_b32_e32 v8, s14
	s_add_u32 s22, s22, 8
	v_mov_b32_e32 v9, s15
	s_addc_u32 s23, s23, 0
	v_cmp_ge_u64_e32 vcc, s[26:27], v[8:9]
	s_add_u32 s24, s24, 8
	v_add3_u32 v6, v11, v6, v10
	s_addc_u32 s25, s25, 0
	s_cbranch_vccnz .LBB0_9
; %bb.7:                                ;   in Loop: Header=BB0_2 Depth=1
	v_mov_b32_e32 v10, v4
	v_mov_b32_e32 v9, v3
	s_branch .LBB0_2
.LBB0_8:
	v_mov_b32_e32 v1, v5
	v_mov_b32_e32 v3, v9
	;; [unrolled: 1-line block ×4, first 2 shown]
.LBB0_9:
	s_load_dwordx2 s[0:1], s[4:5], 0x28
	s_lshl_b64 s[14:15], s[14:15], 3
	s_add_u32 s4, s18, s14
	s_addc_u32 s5, s19, s15
                                        ; implicit-def: $vgpr9
	s_waitcnt lgkmcnt(0)
	v_cmp_gt_u64_e32 vcc, s[0:1], v[3:4]
	v_cmp_le_u64_e64 s[0:1], s[0:1], v[3:4]
	s_and_saveexec_b64 s[6:7], s[0:1]
	s_xor_b64 s[0:1], exec, s[6:7]
; %bb.10:
	s_mov_b32 s6, 0x2702703
	v_mul_hi_u32 v5, v0, s6
	v_mul_u32_u24_e32 v5, 0x69, v5
	v_sub_u32_e32 v9, v0, v5
                                        ; implicit-def: $vgpr0
                                        ; implicit-def: $vgpr5_vgpr6
; %bb.11:
	s_andn2_saveexec_b64 s[6:7], s[0:1]
	s_cbranch_execz .LBB0_13
; %bb.12:
	s_add_u32 s0, s16, s14
	s_mov_b32 s14, 0x2702703
	v_mul_hi_u32 v7, v0, s14
	s_addc_u32 s1, s17, s15
	s_load_dwordx2 s[0:1], s[0:1], 0x0
	v_lshlrev_b64 v[5:6], 2, v[5:6]
	v_mul_u32_u24_e32 v7, 0x69, v7
	v_sub_u32_e32 v9, v0, v7
	v_mad_u64_u32 v[7:8], s[14:15], s20, v9, 0
	s_waitcnt lgkmcnt(0)
	v_mul_lo_u32 v14, s1, v3
	v_mul_lo_u32 v15, s0, v4
	v_mad_u64_u32 v[10:11], s[0:1], s0, v3, 0
	v_mov_b32_e32 v0, v8
	v_mad_u64_u32 v[12:13], s[0:1], s21, v9, v[0:1]
	v_add3_u32 v11, v11, v15, v14
	v_lshlrev_b64 v[10:11], 2, v[10:11]
	v_mov_b32_e32 v8, v12
	v_mov_b32_e32 v0, s9
	v_add_co_u32_e64 v12, s[0:1], s8, v10
	v_add_u32_e32 v13, 0x69, v9
	v_addc_co_u32_e64 v0, s[0:1], v0, v11, s[0:1]
	v_mad_u64_u32 v[10:11], s[0:1], s20, v13, 0
	v_add_co_u32_e64 v18, s[0:1], v12, v5
	v_addc_co_u32_e64 v19, s[0:1], v0, v6, s[0:1]
	v_mov_b32_e32 v0, v11
	v_add_u32_e32 v14, 0xd2, v9
	v_lshlrev_b64 v[5:6], 2, v[7:8]
	v_mad_u64_u32 v[7:8], s[0:1], s21, v13, v[0:1]
	v_mad_u64_u32 v[12:13], s[0:1], s20, v14, 0
	v_add_co_u32_e64 v5, s[0:1], v18, v5
	v_mov_b32_e32 v11, v7
	v_mov_b32_e32 v0, v13
	v_add_u32_e32 v16, 0x13b, v9
	v_addc_co_u32_e64 v6, s[0:1], v19, v6, s[0:1]
	v_lshlrev_b64 v[7:8], 2, v[10:11]
	v_mad_u64_u32 v[10:11], s[0:1], s21, v14, v[0:1]
	v_mad_u64_u32 v[14:15], s[0:1], s20, v16, 0
	v_add_co_u32_e64 v7, s[0:1], v18, v7
	v_mov_b32_e32 v13, v10
	v_mov_b32_e32 v0, v15
	v_add_u32_e32 v20, 0x1a4, v9
	v_addc_co_u32_e64 v8, s[0:1], v19, v8, s[0:1]
	v_lshlrev_b64 v[10:11], 2, v[12:13]
	v_mad_u64_u32 v[12:13], s[0:1], s21, v16, v[0:1]
	v_mad_u64_u32 v[16:17], s[0:1], s20, v20, 0
	v_add_co_u32_e64 v10, s[0:1], v18, v10
	v_mov_b32_e32 v15, v12
	v_mov_b32_e32 v0, v17
	v_addc_co_u32_e64 v11, s[0:1], v19, v11, s[0:1]
	v_lshlrev_b64 v[12:13], 2, v[14:15]
	v_mad_u64_u32 v[14:15], s[0:1], s21, v20, v[0:1]
	v_add_co_u32_e64 v12, s[0:1], v18, v12
	v_mov_b32_e32 v17, v14
	v_lshlrev_b64 v[14:15], 2, v[16:17]
	v_addc_co_u32_e64 v13, s[0:1], v19, v13, s[0:1]
	v_add_co_u32_e64 v14, s[0:1], v18, v14
	v_addc_co_u32_e64 v15, s[0:1], v19, v15, s[0:1]
	global_load_dword v0, v[5:6], off
	global_load_dword v16, v[7:8], off
	;; [unrolled: 1-line block ×5, first 2 shown]
	v_lshl_add_u32 v5, v9, 2, 0
	v_add_u32_e32 v6, 0x200, v5
	s_waitcnt vmcnt(3)
	ds_write2_b32 v5, v0, v16 offset1:105
	s_waitcnt vmcnt(1)
	ds_write2_b32 v6, v17, v18 offset0:82 offset1:187
	s_waitcnt vmcnt(0)
	ds_write_b32 v5, v19 offset:1680
.LBB0_13:
	s_or_b64 exec, exec, s[6:7]
	v_lshl_add_u32 v0, v9, 2, 0
	v_add_u32_e32 v10, 0x400, v0
	s_waitcnt lgkmcnt(0)
	s_barrier
	ds_read2_b32 v[5:6], v0 offset1:75
	ds_read2_b32 v[7:8], v0 offset0:150 offset1:225
	ds_read_b32 v12, v0 offset:1800
	ds_read2_b32 v[10:11], v10 offset0:44 offset1:119
	s_movk_i32 s0, 0x2b26
	s_mov_b32 s1, 0xbcab
	s_movk_i32 s9, 0x3574
	s_waitcnt lgkmcnt(1)
	v_pk_add_f16 v13, v6, v12
	v_pk_add_f16 v6, v6, v12 neg_lo:[0,1] neg_hi:[0,1]
	s_waitcnt lgkmcnt(0)
	v_pk_add_f16 v12, v7, v11
	v_pk_add_f16 v7, v7, v11 neg_lo:[0,1] neg_hi:[0,1]
	v_pk_add_f16 v11, v8, v10
	v_pk_add_f16 v10, v10, v8 neg_lo:[0,1] neg_hi:[0,1]
	v_pk_add_f16 v8, v12, v13
	v_pk_add_f16 v14, v11, v12 neg_lo:[0,1] neg_hi:[0,1]
	v_pk_add_f16 v19, v11, v8
	v_pk_add_f16 v17, v12, v13 neg_lo:[0,1] neg_hi:[0,1]
	v_pk_add_f16 v12, v10, v7 op_sel:[1,1] op_sel_hi:[0,0]
	v_pk_add_f16 v16, v10, v7 op_sel:[1,1] op_sel_hi:[0,0] neg_lo:[0,1] neg_hi:[0,1]
	v_pk_add_f16 v18, v7, v6 op_sel:[1,1] op_sel_hi:[0,0] neg_lo:[0,1] neg_hi:[0,1]
	v_pk_add_f16 v7, v5, v19
	v_pk_mul_f16 v8, v14, s0 op_sel_hi:[1,0]
	v_pk_add_f16 v5, v13, v11 neg_lo:[0,1] neg_hi:[0,1]
	s_movk_i32 s0, 0x3a52
	v_pk_mul_f16 v13, v5, s0 op_sel_hi:[1,0]
	s_mov_b32 s0, 0xb846
	v_pk_mul_f16 v14, v16, s0 op_sel_hi:[1,0]
	s_movk_i32 s0, 0x3b00
	v_pk_fma_f16 v16, v19, s1, v7 op_sel_hi:[1,0,1]
	s_movk_i32 s1, 0x39e0
	v_pk_add_f16 v12, v12, v6 op_sel:[0,1] op_sel_hi:[1,0]
	v_pk_add_f16 v15, v6, v10 op_sel:[1,1] op_sel_hi:[0,0] neg_lo:[0,1] neg_hi:[0,1]
	v_pk_mul_f16 v5, v18, s0 op_sel_hi:[1,0]
	v_pk_fma_f16 v6, v17, s1, v8 op_sel_hi:[1,0,1] neg_lo:[0,0,1] neg_hi:[0,0,1]
	s_movk_i32 s8, 0x370e
	v_pk_fma_f16 v10, v18, s0, v14 op_sel_hi:[1,0,1] neg_lo:[0,0,1] neg_hi:[0,0,1]
	v_pk_add_f16 v11, v6, v16
	v_pk_fma_f16 v6, v17, s1, v13 op_sel_hi:[1,0,1] neg_lo:[1,0,1] neg_hi:[1,0,1]
	v_pk_fma_f16 v5, v15, s9, v5 op_sel_hi:[1,0,1] neg_lo:[1,0,1] neg_hi:[1,0,1]
	v_pk_fma_f16 v10, v12, s8, v10 op_sel_hi:[1,0,1]
	v_pk_add_f16 v17, v6, v16
	v_pk_fma_f16 v18, v12, s8, v5 op_sel_hi:[1,0,1]
	v_pk_add_f16 v5, v11, v10 neg_lo:[0,1] neg_hi:[0,1]
	v_pk_add_f16 v6, v11, v10
	s_mov_b32 s14, 0xffff
	v_alignbit_b32 v11, v17, v11, 16
	v_alignbit_b32 v10, v18, v10, 16
	v_pk_add_f16 v19, v18, v17
	s_movk_i32 s0, 0x4b
	v_bfi_b32 v5, s14, v5, v6
	v_pk_add_f16 v10, v11, v10 neg_lo:[0,1] neg_hi:[0,1]
	v_lshrrev_b32_e32 v11, 16, v19
	v_cmp_gt_u32_e64 s[0:1], s0, v9
	s_barrier
	s_and_saveexec_b64 s[6:7], s[0:1]
	s_cbranch_execz .LBB0_15
; %bb.14:
	v_pk_mul_f16 v15, v15, s9 op_sel_hi:[1,0]
	v_pk_mul_f16 v12, v12, s8 op_sel_hi:[1,0]
	v_pk_add_f16 v8, v8, v13
	v_pk_add_f16 v13, v14, v15
	;; [unrolled: 1-line block ×5, first 2 shown]
	v_pk_add_f16 v8, v8, v12 neg_lo:[0,1] neg_hi:[0,1]
	v_pk_add_f16 v17, v17, v18 neg_lo:[0,1] neg_hi:[0,1]
	v_mad_u32_u24 v18, v9, 24, v0
	v_bfi_b32 v12, s14, v13, v8
	s_mov_b32 s0, 0x5040100
	v_bfi_b32 v17, s14, v19, v17
	ds_write2_b32 v18, v7, v12 offset1:1
	ds_write2_b32 v18, v17, v5 offset0:2 offset1:3
	v_perm_b32 v7, v10, v6, s0
	v_alignbit_b32 v12, v11, v10, 16
	ds_write2_b32 v18, v7, v12 offset0:4 offset1:5
	v_bfi_b32 v7, s14, v8, v13
	ds_write_b32 v18, v7 offset:24
.LBB0_15:
	s_or_b64 exec, exec, s[6:7]
	s_waitcnt lgkmcnt(0)
	s_barrier
	ds_read2_b32 v[7:8], v0 offset1:175
	ds_read_b32 v14, v0 offset:1400
	s_movk_i32 s0, 0x46
	v_cmp_gt_u32_e64 s[0:1], s0, v9
	v_lshrrev_b32_e32 v13, 16, v10
	s_and_saveexec_b64 s[6:7], s[0:1]
	s_cbranch_execz .LBB0_17
; %bb.16:
	v_add_u32_e32 v5, 0x100, v0
	ds_read2_b32 v[5:6], v5 offset0:41 offset1:216
	ds_read_b32 v13, v0 offset:1820
	s_waitcnt lgkmcnt(1)
	v_lshrrev_b32_e32 v10, 16, v6
	s_waitcnt lgkmcnt(0)
	v_lshrrev_b32_e32 v11, 16, v13
.LBB0_17:
	s_or_b64 exec, exec, s[6:7]
	v_mov_b32_e32 v15, 37
	v_mul_lo_u16_sdwa v12, v9, v15 dst_sel:DWORD dst_unused:UNUSED_PAD src0_sel:BYTE_0 src1_sel:DWORD
	v_sub_u16_sdwa v16, v9, v12 dst_sel:DWORD dst_unused:UNUSED_PAD src0_sel:DWORD src1_sel:BYTE_1
	v_lshrrev_b16_e32 v16, 1, v16
	v_and_b32_e32 v16, 0x7f, v16
	v_add_u16_sdwa v12, v16, v12 dst_sel:DWORD dst_unused:UNUSED_PAD src0_sel:DWORD src1_sel:BYTE_1
	v_lshrrev_b16_e32 v19, 2, v12
	v_mul_lo_u16_e32 v12, 7, v19
	v_sub_u16_e32 v20, v9, v12
	v_mov_b32_e32 v16, 3
	v_lshlrev_b32_sdwa v12, v16, v20 dst_sel:DWORD dst_unused:UNUSED_PAD src0_sel:DWORD src1_sel:BYTE_0
	global_load_dwordx2 v[17:18], v12, s[12:13]
	v_mov_b32_e32 v12, 2
	s_waitcnt lgkmcnt(1)
	v_lshrrev_b32_e32 v21, 16, v8
	s_waitcnt lgkmcnt(0)
	v_lshrrev_b32_e32 v22, 16, v14
	v_mul_u32_u24_e32 v19, 0x54, v19
	v_lshlrev_b32_sdwa v20, v12, v20 dst_sel:DWORD dst_unused:UNUSED_PAD src0_sel:DWORD src1_sel:BYTE_0
	v_add3_u32 v19, 0, v19, v20
	s_load_dwordx2 s[4:5], s[4:5], 0x0
	v_lshrrev_b32_e32 v23, 16, v7
	s_movk_i32 s8, 0x3aee
	s_mov_b32 s6, 0xbaee
	s_waitcnt vmcnt(0) lgkmcnt(0)
	s_barrier
	v_mul_f16_sdwa v20, v17, v21 dst_sel:DWORD dst_unused:UNUSED_PAD src0_sel:WORD_1 src1_sel:DWORD
	v_mul_f16_sdwa v24, v17, v8 dst_sel:DWORD dst_unused:UNUSED_PAD src0_sel:WORD_1 src1_sel:DWORD
	;; [unrolled: 1-line block ×4, first 2 shown]
	v_fma_f16 v8, v17, v8, -v20
	v_fma_f16 v17, v17, v21, v24
	v_fma_f16 v14, v18, v14, -v25
	v_fma_f16 v18, v18, v22, v26
	v_add_f16_e32 v21, v8, v14
	v_sub_f16_e32 v22, v17, v18
	v_add_f16_e32 v24, v17, v23
	v_add_f16_e32 v17, v17, v18
	;; [unrolled: 1-line block ×3, first 2 shown]
	v_sub_f16_e32 v8, v8, v14
	v_fma_f16 v7, v21, -0.5, v7
	v_fma_f16 v17, v17, -0.5, v23
	v_add_f16_e32 v14, v20, v14
	v_add_f16_e32 v18, v24, v18
	v_fma_f16 v20, v22, s8, v7
	v_fma_f16 v21, v8, s6, v17
	;; [unrolled: 1-line block ×4, first 2 shown]
	v_pack_b32_f16 v14, v14, v18
	v_pack_b32_f16 v17, v20, v21
	;; [unrolled: 1-line block ×3, first 2 shown]
	ds_write2_b32 v19, v14, v17 offset1:7
	ds_write_b32 v19, v7 offset:56
	s_and_saveexec_b64 s[6:7], s[0:1]
	s_cbranch_execz .LBB0_19
; %bb.18:
	v_add_u16_e32 v7, 0x69, v9
	v_mul_lo_u16_sdwa v8, v7, v15 dst_sel:DWORD dst_unused:UNUSED_PAD src0_sel:BYTE_0 src1_sel:DWORD
	v_sub_u16_sdwa v14, v7, v8 dst_sel:DWORD dst_unused:UNUSED_PAD src0_sel:DWORD src1_sel:BYTE_1
	v_lshrrev_b16_e32 v14, 1, v14
	v_and_b32_e32 v14, 0x7f, v14
	v_add_u16_sdwa v8, v14, v8 dst_sel:DWORD dst_unused:UNUSED_PAD src0_sel:DWORD src1_sel:BYTE_1
	v_lshrrev_b16_e32 v14, 2, v8
	v_mul_lo_u16_e32 v8, 7, v14
	v_sub_u16_e32 v15, v7, v8
	v_lshlrev_b32_sdwa v7, v16, v15 dst_sel:DWORD dst_unused:UNUSED_PAD src0_sel:DWORD src1_sel:BYTE_0
	global_load_dwordx2 v[7:8], v7, s[12:13]
	v_mul_u32_u24_e32 v14, 0x54, v14
	v_lshlrev_b32_sdwa v15, v12, v15 dst_sel:DWORD dst_unused:UNUSED_PAD src0_sel:DWORD src1_sel:BYTE_0
	s_mov_b32 s0, 0xffff
	v_add3_u32 v14, 0, v14, v15
	s_waitcnt vmcnt(0)
	v_pk_mul_f16 v10, v10, v7 op_sel_hi:[0,1]
	v_pk_mul_f16 v11, v11, v8 op_sel_hi:[0,1]
	v_pk_fma_f16 v15, v6, v7, v10 op_sel:[0,0,1] op_sel_hi:[1,1,0] neg_lo:[0,0,1] neg_hi:[0,0,1]
	v_pk_fma_f16 v6, v6, v7, v10 op_sel:[0,0,1] op_sel_hi:[0,1,0]
	v_pk_fma_f16 v7, v13, v8, v11 op_sel:[0,0,1] op_sel_hi:[1,1,0] neg_lo:[0,0,1] neg_hi:[0,0,1]
	v_pk_fma_f16 v8, v13, v8, v11 op_sel:[0,0,1] op_sel_hi:[0,1,0]
	v_bfi_b32 v6, s0, v15, v6
	v_bfi_b32 v7, s0, v7, v8
	v_pk_add_f16 v8, v5, v6
	v_pk_add_f16 v10, v6, v7
	v_pk_add_f16 v6, v6, v7 neg_lo:[0,1] neg_hi:[0,1]
	v_pk_fma_f16 v5, v10, -0.5, v5 op_sel_hi:[1,0,1]
	v_pk_mul_f16 v6, v6, s8 op_sel_hi:[1,0]
	v_pk_add_f16 v7, v8, v7
	v_pk_add_f16 v8, v5, v6 op_sel:[0,1] op_sel_hi:[1,0]
	v_pk_add_f16 v5, v5, v6 op_sel:[0,1] op_sel_hi:[1,0] neg_lo:[0,1] neg_hi:[0,1]
	v_bfi_b32 v6, s0, v8, v5
	v_bfi_b32 v5, s0, v5, v8
	ds_write2_b32 v14, v7, v6 offset1:7
	ds_write_b32 v14, v5 offset:56
.LBB0_19:
	s_or_b64 exec, exec, s[6:7]
	s_movk_i32 s0, 0x87
	v_mul_lo_u16_sdwa v5, v9, s0 dst_sel:DWORD dst_unused:UNUSED_PAD src0_sel:BYTE_0 src1_sel:DWORD
	v_sub_u16_sdwa v6, v9, v5 dst_sel:DWORD dst_unused:UNUSED_PAD src0_sel:DWORD src1_sel:BYTE_1
	v_lshrrev_b16_e32 v6, 1, v6
	v_and_b32_e32 v6, 0x7f, v6
	v_add_u16_sdwa v5, v6, v5 dst_sel:DWORD dst_unused:UNUSED_PAD src0_sel:DWORD src1_sel:BYTE_1
	v_lshrrev_b16_e32 v5, 4, v5
	v_and_b32_e32 v15, 15, v5
	v_mul_lo_u16_e32 v5, 21, v15
	v_sub_u16_e32 v16, v9, v5
	v_mov_b32_e32 v5, 4
	v_lshlrev_b32_sdwa v5, v5, v16 dst_sel:DWORD dst_unused:UNUSED_PAD src0_sel:DWORD src1_sel:BYTE_0
	s_waitcnt lgkmcnt(0)
	s_barrier
	global_load_dwordx4 v[5:8], v5, s[12:13] offset:56
	v_add_u32_e32 v17, 0x200, v0
	ds_read2_b32 v[10:11], v0 offset1:105
	ds_read_u16 v18, v0 offset:2
	ds_read_b32 v19, v0 offset:1680
	ds_read2_b32 v[13:14], v17 offset0:82 offset1:187
	v_lshlrev_b32_sdwa v12, v12, v16 dst_sel:DWORD dst_unused:UNUSED_PAD src0_sel:DWORD src1_sel:BYTE_0
	s_movk_i32 s6, 0x3b9c
	s_waitcnt lgkmcnt(3)
	v_lshrrev_b32_e32 v20, 16, v11
	s_mov_b32 s8, 0xbb9c
	s_waitcnt lgkmcnt(0)
	v_lshrrev_b32_e32 v21, 16, v13
	v_lshrrev_b32_e32 v22, 16, v14
	s_movk_i32 s7, 0x38b4
	s_mov_b32 s9, 0xb8b4
	s_movk_i32 s14, 0x34f2
	s_movk_i32 s0, 0x1a4
	s_waitcnt vmcnt(0)
	s_barrier
	v_mul_f16_sdwa v16, v6, v21 dst_sel:DWORD dst_unused:UNUSED_PAD src0_sel:WORD_1 src1_sel:DWORD
	v_mul_f16_sdwa v23, v6, v13 dst_sel:DWORD dst_unused:UNUSED_PAD src0_sel:WORD_1 src1_sel:DWORD
	v_fma_f16 v13, v6, v13, -v16
	v_fma_f16 v6, v6, v21, v23
	v_mul_f16_sdwa v21, v5, v11 dst_sel:DWORD dst_unused:UNUSED_PAD src0_sel:WORD_1 src1_sel:DWORD
	v_mul_f16_sdwa v24, v7, v22 dst_sel:DWORD dst_unused:UNUSED_PAD src0_sel:WORD_1 src1_sel:DWORD
	v_fma_f16 v21, v5, v20, v21
	v_mul_f16_sdwa v20, v5, v20 dst_sel:DWORD dst_unused:UNUSED_PAD src0_sel:WORD_1 src1_sel:DWORD
	v_fma_f16 v16, v7, v14, -v24
	v_mul_f16_sdwa v14, v7, v14 dst_sel:DWORD dst_unused:UNUSED_PAD src0_sel:WORD_1 src1_sel:DWORD
	v_lshrrev_b32_e32 v24, 16, v19
	v_fma_f16 v5, v5, v11, -v20
	v_fma_f16 v7, v7, v22, v14
	v_mul_f16_sdwa v14, v8, v24 dst_sel:DWORD dst_unused:UNUSED_PAD src0_sel:WORD_1 src1_sel:DWORD
	v_add_f16_e32 v11, v5, v10
	v_fma_f16 v14, v8, v19, -v14
	v_mul_f16_sdwa v19, v8, v19 dst_sel:DWORD dst_unused:UNUSED_PAD src0_sel:WORD_1 src1_sel:DWORD
	v_add_f16_e32 v11, v11, v13
	v_fma_f16 v8, v8, v24, v19
	v_add_f16_e32 v19, v13, v16
	v_add_f16_e32 v23, v5, v14
	;; [unrolled: 1-line block ×3, first 2 shown]
	v_sub_f16_e32 v20, v5, v13
	v_sub_f16_e32 v22, v14, v16
	v_fma_f16 v19, v19, -0.5, v10
	v_fma_f16 v10, v23, -0.5, v10
	v_sub_f16_e32 v23, v13, v5
	v_sub_f16_e32 v24, v16, v14
	;; [unrolled: 1-line block ×3, first 2 shown]
	v_add_f16_e32 v16, v6, v7
	v_sub_f16_e32 v5, v5, v14
	v_add_f16_e32 v11, v11, v14
	v_add_f16_e32 v14, v21, v8
	;; [unrolled: 1-line block ×3, first 2 shown]
	v_sub_f16_e32 v22, v21, v6
	v_add_f16_e32 v23, v23, v24
	v_sub_f16_e32 v24, v8, v7
	v_fma_f16 v16, v16, -0.5, v18
	v_fma_f16 v14, v14, -0.5, v18
	v_add_f16_e32 v18, v18, v21
	v_add_f16_e32 v22, v22, v24
	v_sub_f16_e32 v24, v21, v8
	v_add_f16_e32 v18, v18, v6
	v_sub_f16_e32 v21, v6, v21
	v_sub_f16_e32 v6, v6, v7
	v_fma_f16 v25, v24, s6, v19
	v_fma_f16 v19, v24, s8, v19
	v_add_f16_e32 v18, v18, v7
	v_fma_f16 v26, v6, s8, v10
	v_fma_f16 v10, v6, s6, v10
	;; [unrolled: 1-line block ×4, first 2 shown]
	v_sub_f16_e32 v7, v7, v8
	v_add_f16_e32 v8, v18, v8
	v_fma_f16 v18, v5, s8, v16
	v_fma_f16 v16, v5, s6, v16
	;; [unrolled: 1-line block ×11, first 2 shown]
	v_add_f16_e32 v7, v21, v7
	v_fma_f16 v5, v5, s7, v13
	v_fma_f16 v18, v22, s14, v18
	;; [unrolled: 1-line block ×4, first 2 shown]
	v_mul_u32_u24_sdwa v7, v15, s0 dst_sel:DWORD dst_unused:UNUSED_PAD src0_sel:WORD_0 src1_sel:DWORD
	v_fma_f16 v19, v23, s14, v19
	v_fma_f16 v10, v23, s14, v10
	v_add3_u32 v7, 0, v7, v12
	v_pack_b32_f16 v8, v11, v8
	v_pack_b32_f16 v11, v24, v18
	v_fma_f16 v16, v22, s14, v16
	ds_write2_b32 v7, v8, v11 offset1:21
	v_pack_b32_f16 v8, v19, v20
	v_pack_b32_f16 v5, v10, v5
	ds_write2_b32 v7, v8, v5 offset0:42 offset1:63
	v_pack_b32_f16 v5, v6, v16
	ds_write_b32 v7, v5 offset:336
	v_lshlrev_b32_e32 v5, 2, v9
	v_mov_b32_e32 v6, 0
	v_lshlrev_b64 v[5:6], 2, v[5:6]
	v_mov_b32_e32 v7, s13
	v_add_co_u32_e64 v5, s[0:1], s12, v5
	v_addc_co_u32_e64 v6, s[0:1], v7, v6, s[0:1]
	s_waitcnt lgkmcnt(0)
	s_barrier
	global_load_dwordx4 v[5:8], v[5:6], off offset:392
	ds_read2_b32 v[10:11], v0 offset1:105
	ds_read2_b32 v[12:13], v17 offset0:82 offset1:187
	ds_read_b32 v14, v0 offset:1680
	ds_read_u16 v15, v0 offset:2
	s_waitcnt lgkmcnt(0)
	v_lshrrev_b32_e32 v16, 16, v11
	v_lshrrev_b32_e32 v18, 16, v12
	;; [unrolled: 1-line block ×4, first 2 shown]
	s_waitcnt vmcnt(0)
	s_barrier
	v_mul_f16_sdwa v22, v6, v18 dst_sel:DWORD dst_unused:UNUSED_PAD src0_sel:WORD_1 src1_sel:DWORD
	v_mul_f16_sdwa v24, v7, v19 dst_sel:DWORD dst_unused:UNUSED_PAD src0_sel:WORD_1 src1_sel:DWORD
	;; [unrolled: 1-line block ×3, first 2 shown]
	v_fma_f16 v12, v6, v12, -v22
	v_fma_f16 v22, v7, v13, -v24
	v_mul_f16_sdwa v24, v5, v11 dst_sel:DWORD dst_unused:UNUSED_PAD src0_sel:WORD_1 src1_sel:DWORD
	v_mul_f16_sdwa v21, v5, v16 dst_sel:DWORD dst_unused:UNUSED_PAD src0_sel:WORD_1 src1_sel:DWORD
	v_fma_f16 v16, v5, v16, v24
	v_mul_f16_sdwa v24, v8, v20 dst_sel:DWORD dst_unused:UNUSED_PAD src0_sel:WORD_1 src1_sel:DWORD
	v_mul_f16_sdwa v13, v7, v13 dst_sel:DWORD dst_unused:UNUSED_PAD src0_sel:WORD_1 src1_sel:DWORD
	v_fma_f16 v5, v5, v11, -v21
	v_fma_f16 v11, v8, v14, -v24
	v_fma_f16 v6, v6, v18, v23
	v_mul_f16_sdwa v18, v8, v14 dst_sel:DWORD dst_unused:UNUSED_PAD src0_sel:WORD_1 src1_sel:DWORD
	v_fma_f16 v7, v7, v19, v13
	v_add_f16_e32 v14, v12, v22
	v_add_f16_e32 v23, v5, v11
	v_fma_f16 v8, v8, v20, v18
	v_add_f16_e32 v13, v5, v10
	v_sub_f16_e32 v19, v6, v7
	v_sub_f16_e32 v20, v5, v12
	;; [unrolled: 1-line block ×3, first 2 shown]
	v_fma_f16 v14, v14, -0.5, v10
	v_fma_f16 v10, v23, -0.5, v10
	v_sub_f16_e32 v23, v12, v5
	v_sub_f16_e32 v24, v22, v11
	;; [unrolled: 1-line block ×3, first 2 shown]
	v_add_f16_e32 v20, v20, v21
	v_add_f16_e32 v21, v23, v24
	v_fma_f16 v24, v19, s8, v10
	v_fma_f16 v10, v19, s6, v10
	;; [unrolled: 1-line block ×6, first 2 shown]
	v_add_f16_e32 v18, v6, v7
	v_add_f16_e32 v13, v13, v12
	v_fma_f16 v23, v19, s7, v23
	v_fma_f16 v14, v19, s9, v14
	v_add_f16_e32 v13, v13, v22
	v_fma_f16 v18, v18, -0.5, v15
	v_sub_f16_e32 v5, v5, v11
	v_add_f16_e32 v13, v13, v11
	v_fma_f16 v23, v20, s14, v23
	v_fma_f16 v14, v20, s14, v14
	;; [unrolled: 1-line block ×5, first 2 shown]
	v_sub_f16_e32 v12, v12, v22
	v_sub_f16_e32 v21, v16, v6
	;; [unrolled: 1-line block ×3, first 2 shown]
	v_fma_f16 v18, v5, s6, v18
	v_add_f16_e32 v19, v15, v16
	v_fma_f16 v11, v12, s9, v11
	v_add_f16_e32 v21, v21, v22
	v_fma_f16 v18, v12, s7, v18
	v_add_f16_e32 v19, v19, v6
	v_fma_f16 v11, v21, s14, v11
	v_fma_f16 v18, v21, s14, v18
	v_add_f16_e32 v21, v16, v8
	v_add_f16_e32 v19, v19, v7
	v_fma_f16 v15, v21, -0.5, v15
	v_add_f16_e32 v19, v19, v8
	v_fma_f16 v21, v12, s6, v15
	v_sub_f16_e32 v6, v6, v16
	v_sub_f16_e32 v7, v7, v8
	v_fma_f16 v8, v12, s8, v15
	v_fma_f16 v21, v5, s9, v21
	v_add_f16_e32 v6, v6, v7
	v_fma_f16 v5, v5, s7, v8
	v_fma_f16 v7, v6, s14, v21
	;; [unrolled: 1-line block ×3, first 2 shown]
	v_pack_b32_f16 v6, v13, v19
	v_pack_b32_f16 v8, v23, v11
	ds_write2_b32 v0, v6, v8 offset1:105
	v_pack_b32_f16 v6, v20, v7
	v_pack_b32_f16 v5, v10, v5
	ds_write2_b32 v17, v6, v5 offset0:82 offset1:187
	v_pack_b32_f16 v5, v14, v18
	ds_write_b32 v0, v5 offset:1680
	s_waitcnt lgkmcnt(0)
	s_barrier
	s_and_saveexec_b64 s[0:1], vcc
	s_cbranch_execz .LBB0_21
; %bb.20:
	v_mul_lo_u32 v8, s5, v3
	v_mul_lo_u32 v10, s4, v4
	v_mad_u64_u32 v[3:4], s[0:1], s4, v3, 0
	v_mad_u64_u32 v[5:6], s[0:1], s2, v9, 0
	v_add3_u32 v4, v4, v10, v8
	v_lshlrev_b64 v[3:4], 2, v[3:4]
	v_mov_b32_e32 v0, v6
	v_mad_u64_u32 v[6:7], s[0:1], s3, v9, v[0:1]
	v_mov_b32_e32 v0, s11
	v_add_co_u32_e32 v3, vcc, s10, v3
	v_addc_co_u32_e32 v4, vcc, v0, v4, vcc
	v_lshlrev_b64 v[0:1], 2, v[1:2]
	v_lshl_add_u32 v10, v9, 2, 0
	v_add_co_u32_e32 v11, vcc, v3, v0
	v_addc_co_u32_e32 v12, vcc, v4, v1, vcc
	v_add_u32_e32 v4, 0x69, v9
	v_mad_u64_u32 v[2:3], s[0:1], s2, v4, 0
	ds_read2_b32 v[7:8], v10 offset1:105
	v_lshlrev_b64 v[0:1], 2, v[5:6]
	v_mad_u64_u32 v[3:4], s[0:1], s3, v4, v[3:4]
	v_add_u32_e32 v6, 0xd2, v9
	v_mad_u64_u32 v[4:5], s[0:1], s2, v6, 0
	v_add_co_u32_e32 v0, vcc, v11, v0
	v_addc_co_u32_e32 v1, vcc, v12, v1, vcc
	s_waitcnt lgkmcnt(0)
	global_store_dword v[0:1], v7, off
	v_lshlrev_b64 v[0:1], 2, v[2:3]
	v_mov_b32_e32 v2, v5
	v_mad_u64_u32 v[2:3], s[0:1], s3, v6, v[2:3]
	v_add_u32_e32 v6, 0x13b, v9
	v_add_co_u32_e32 v0, vcc, v11, v0
	v_mov_b32_e32 v5, v2
	v_lshlrev_b64 v[2:3], 2, v[4:5]
	v_mad_u64_u32 v[4:5], s[0:1], s2, v6, 0
	v_addc_co_u32_e32 v1, vcc, v12, v1, vcc
	global_store_dword v[0:1], v8, off
	v_add_u32_e32 v0, 0x200, v10
	ds_read2_b32 v[0:1], v0 offset0:82 offset1:187
	v_mad_u64_u32 v[5:6], s[0:1], s3, v6, v[5:6]
	v_add_u32_e32 v8, 0x1a4, v9
	v_mad_u64_u32 v[6:7], s[0:1], s2, v8, 0
	v_add_co_u32_e32 v2, vcc, v11, v2
	v_addc_co_u32_e32 v3, vcc, v12, v3, vcc
	s_waitcnt lgkmcnt(0)
	global_store_dword v[2:3], v0, off
	v_mov_b32_e32 v0, v7
	v_lshlrev_b64 v[2:3], 2, v[4:5]
	v_mad_u64_u32 v[4:5], s[0:1], s3, v8, v[0:1]
	v_add_co_u32_e32 v2, vcc, v11, v2
	v_addc_co_u32_e32 v3, vcc, v12, v3, vcc
	global_store_dword v[2:3], v1, off
	v_mov_b32_e32 v7, v4
	ds_read_b32 v2, v10 offset:1680
	v_lshlrev_b64 v[0:1], 2, v[6:7]
	v_add_co_u32_e32 v0, vcc, v11, v0
	v_addc_co_u32_e32 v1, vcc, v12, v1, vcc
	s_waitcnt lgkmcnt(0)
	global_store_dword v[0:1], v2, off
.LBB0_21:
	s_endpgm
	.section	.rodata,"a",@progbits
	.p2align	6, 0x0
	.amdhsa_kernel fft_rtc_fwd_len525_factors_7_3_5_5_wgs_105_tpt_105_half_op_CI_CI_sbrr_dirReg
		.amdhsa_group_segment_fixed_size 0
		.amdhsa_private_segment_fixed_size 0
		.amdhsa_kernarg_size 104
		.amdhsa_user_sgpr_count 6
		.amdhsa_user_sgpr_private_segment_buffer 1
		.amdhsa_user_sgpr_dispatch_ptr 0
		.amdhsa_user_sgpr_queue_ptr 0
		.amdhsa_user_sgpr_kernarg_segment_ptr 1
		.amdhsa_user_sgpr_dispatch_id 0
		.amdhsa_user_sgpr_flat_scratch_init 0
		.amdhsa_user_sgpr_private_segment_size 0
		.amdhsa_uses_dynamic_stack 0
		.amdhsa_system_sgpr_private_segment_wavefront_offset 0
		.amdhsa_system_sgpr_workgroup_id_x 1
		.amdhsa_system_sgpr_workgroup_id_y 0
		.amdhsa_system_sgpr_workgroup_id_z 0
		.amdhsa_system_sgpr_workgroup_info 0
		.amdhsa_system_vgpr_workitem_id 0
		.amdhsa_next_free_vgpr 27
		.amdhsa_next_free_sgpr 32
		.amdhsa_reserve_vcc 1
		.amdhsa_reserve_flat_scratch 0
		.amdhsa_float_round_mode_32 0
		.amdhsa_float_round_mode_16_64 0
		.amdhsa_float_denorm_mode_32 3
		.amdhsa_float_denorm_mode_16_64 3
		.amdhsa_dx10_clamp 1
		.amdhsa_ieee_mode 1
		.amdhsa_fp16_overflow 0
		.amdhsa_exception_fp_ieee_invalid_op 0
		.amdhsa_exception_fp_denorm_src 0
		.amdhsa_exception_fp_ieee_div_zero 0
		.amdhsa_exception_fp_ieee_overflow 0
		.amdhsa_exception_fp_ieee_underflow 0
		.amdhsa_exception_fp_ieee_inexact 0
		.amdhsa_exception_int_div_zero 0
	.end_amdhsa_kernel
	.text
.Lfunc_end0:
	.size	fft_rtc_fwd_len525_factors_7_3_5_5_wgs_105_tpt_105_half_op_CI_CI_sbrr_dirReg, .Lfunc_end0-fft_rtc_fwd_len525_factors_7_3_5_5_wgs_105_tpt_105_half_op_CI_CI_sbrr_dirReg
                                        ; -- End function
	.section	.AMDGPU.csdata,"",@progbits
; Kernel info:
; codeLenInByte = 4756
; NumSgprs: 36
; NumVgprs: 27
; ScratchSize: 0
; MemoryBound: 0
; FloatMode: 240
; IeeeMode: 1
; LDSByteSize: 0 bytes/workgroup (compile time only)
; SGPRBlocks: 4
; VGPRBlocks: 6
; NumSGPRsForWavesPerEU: 36
; NumVGPRsForWavesPerEU: 27
; Occupancy: 8
; WaveLimiterHint : 1
; COMPUTE_PGM_RSRC2:SCRATCH_EN: 0
; COMPUTE_PGM_RSRC2:USER_SGPR: 6
; COMPUTE_PGM_RSRC2:TRAP_HANDLER: 0
; COMPUTE_PGM_RSRC2:TGID_X_EN: 1
; COMPUTE_PGM_RSRC2:TGID_Y_EN: 0
; COMPUTE_PGM_RSRC2:TGID_Z_EN: 0
; COMPUTE_PGM_RSRC2:TIDIG_COMP_CNT: 0
	.type	__hip_cuid_9263059274bc766e,@object ; @__hip_cuid_9263059274bc766e
	.section	.bss,"aw",@nobits
	.globl	__hip_cuid_9263059274bc766e
__hip_cuid_9263059274bc766e:
	.byte	0                               ; 0x0
	.size	__hip_cuid_9263059274bc766e, 1

	.ident	"AMD clang version 19.0.0git (https://github.com/RadeonOpenCompute/llvm-project roc-6.4.0 25133 c7fe45cf4b819c5991fe208aaa96edf142730f1d)"
	.section	".note.GNU-stack","",@progbits
	.addrsig
	.addrsig_sym __hip_cuid_9263059274bc766e
	.amdgpu_metadata
---
amdhsa.kernels:
  - .args:
      - .actual_access:  read_only
        .address_space:  global
        .offset:         0
        .size:           8
        .value_kind:     global_buffer
      - .offset:         8
        .size:           8
        .value_kind:     by_value
      - .actual_access:  read_only
        .address_space:  global
        .offset:         16
        .size:           8
        .value_kind:     global_buffer
      - .actual_access:  read_only
        .address_space:  global
        .offset:         24
        .size:           8
        .value_kind:     global_buffer
      - .actual_access:  read_only
        .address_space:  global
        .offset:         32
        .size:           8
        .value_kind:     global_buffer
      - .offset:         40
        .size:           8
        .value_kind:     by_value
      - .actual_access:  read_only
        .address_space:  global
        .offset:         48
        .size:           8
        .value_kind:     global_buffer
      - .actual_access:  read_only
        .address_space:  global
        .offset:         56
        .size:           8
        .value_kind:     global_buffer
      - .offset:         64
        .size:           4
        .value_kind:     by_value
      - .actual_access:  read_only
        .address_space:  global
        .offset:         72
        .size:           8
        .value_kind:     global_buffer
      - .actual_access:  read_only
        .address_space:  global
        .offset:         80
        .size:           8
        .value_kind:     global_buffer
      - .actual_access:  read_only
        .address_space:  global
        .offset:         88
        .size:           8
        .value_kind:     global_buffer
      - .actual_access:  write_only
        .address_space:  global
        .offset:         96
        .size:           8
        .value_kind:     global_buffer
    .group_segment_fixed_size: 0
    .kernarg_segment_align: 8
    .kernarg_segment_size: 104
    .language:       OpenCL C
    .language_version:
      - 2
      - 0
    .max_flat_workgroup_size: 105
    .name:           fft_rtc_fwd_len525_factors_7_3_5_5_wgs_105_tpt_105_half_op_CI_CI_sbrr_dirReg
    .private_segment_fixed_size: 0
    .sgpr_count:     36
    .sgpr_spill_count: 0
    .symbol:         fft_rtc_fwd_len525_factors_7_3_5_5_wgs_105_tpt_105_half_op_CI_CI_sbrr_dirReg.kd
    .uniform_work_group_size: 1
    .uses_dynamic_stack: false
    .vgpr_count:     27
    .vgpr_spill_count: 0
    .wavefront_size: 64
amdhsa.target:   amdgcn-amd-amdhsa--gfx906
amdhsa.version:
  - 1
  - 2
...

	.end_amdgpu_metadata
